;; amdgpu-corpus repo=zjin-lcf/HeCBench kind=compiled arch=gfx906 opt=O3
	.amdgcn_target "amdgcn-amd-amdhsa--gfx906"
	.amdhsa_code_object_version 6
	.text
	.protected	_Z14barrel_distortPK15HIP_vector_typeIhLj3EEPS0_PK10Properties ; -- Begin function _Z14barrel_distortPK15HIP_vector_typeIhLj3EEPS0_PK10Properties
	.globl	_Z14barrel_distortPK15HIP_vector_typeIhLj3EEPS0_PK10Properties
	.p2align	8
	.type	_Z14barrel_distortPK15HIP_vector_typeIhLj3EEPS0_PK10Properties,@function
_Z14barrel_distortPK15HIP_vector_typeIhLj3EEPS0_PK10Properties: ; @_Z14barrel_distortPK15HIP_vector_typeIhLj3EEPS0_PK10Properties
; %bb.0:
	s_load_dwordx2 s[2:3], s[4:5], 0x10
	s_load_dword s0, s[4:5], 0x24
	s_waitcnt lgkmcnt(0)
	s_and_b32 s1, s0, 0xffff
	s_load_dword s10, s[2:3], 0xc
	s_mul_i32 s6, s6, s1
	v_add_u32_e32 v0, s6, v0
	s_waitcnt lgkmcnt(0)
	v_cmp_gt_i32_e32 vcc, s10, v0
	s_and_saveexec_b64 s[8:9], vcc
	s_cbranch_execz .LBB0_9
; %bb.1:
	s_load_dword s6, s[2:3], 0x10
	s_lshr_b32 s0, s0, 16
	s_mul_i32 s7, s7, s0
	v_add_u32_e32 v1, s7, v1
	s_waitcnt lgkmcnt(0)
	v_cmp_gt_i32_e32 vcc, s6, v1
	s_and_b64 exec, exec, vcc
	s_cbranch_execz .LBB0_9
; %bb.2:
	s_load_dwordx2 s[0:1], s[4:5], 0x8
	s_load_dwordx4 s[12:15], s[2:3], 0x18
	v_cvt_f32_i32_e32 v2, v0
	v_cvt_f32_i32_e32 v3, v1
	s_load_dwordx2 s[8:9], s[2:3], 0x0
	s_load_dword s7, s[2:3], 0x8
	s_waitcnt lgkmcnt(0)
	v_mov_b32_e32 v4, s14
	v_fma_f32 v2, s12, v2, v4
	v_mov_b32_e32 v4, s15
	v_fma_f32 v3, s13, v3, v4
	v_subrev_f32_e32 v6, s7, v3
	v_subrev_f32_e32 v4, s9, v2
	v_mul_f32_e32 v7, v6, v6
	v_mul_f32_e32 v5, s8, v4
	v_fmac_f32_e32 v7, v4, v4
	v_mul_f32_e32 v4, s8, v6
	v_fmac_f32_e32 v2, v5, v7
	v_fmac_f32_e32 v3, v4, v7
	v_min_f32_e32 v4, v3, v2
	v_cmp_ngt_f32_e32 vcc, 0, v4
	v_mov_b32_e32 v6, 0
	v_mov_b32_e32 v5, 0
	;; [unrolled: 1-line block ×3, first 2 shown]
	s_and_saveexec_b64 s[2:3], vcc
	s_cbranch_execz .LBB0_8
; %bb.3:
	s_add_i32 s6, s6, -1
	v_cvt_f32_i32_e32 v6, s6
	v_mov_b32_e32 v4, 0
	v_mov_b32_e32 v5, 0
	v_cmp_ngt_f32_e32 vcc, v3, v6
	v_mov_b32_e32 v6, 0
	s_and_saveexec_b64 s[6:7], vcc
	s_cbranch_execz .LBB0_7
; %bb.4:
	s_add_i32 s8, s10, -1
	v_cvt_f32_i32_e32 v6, s8
	v_mov_b32_e32 v4, 0
	v_mov_b32_e32 v5, 0
	v_cmp_ngt_f32_e32 vcc, v2, v6
	v_mov_b32_e32 v6, 0
	s_and_saveexec_b64 s[8:9], vcc
	s_cbranch_execz .LBB0_6
; %bb.5:
	v_floor_f32_e32 v4, v3
	v_cvt_i32_f32_e32 v12, v4
	v_ceil_f32_e32 v4, v3
	v_cvt_i32_f32_e32 v7, v4
	v_floor_f32_e32 v5, v2
	s_load_dwordx2 s[4:5], s[4:5], 0x0
	v_cvt_i32_f32_e32 v13, v5
	v_mul_lo_u32 v6, s10, v12
	v_ceil_f32_e32 v4, v2
	v_cvt_i32_f32_e32 v8, v4
	v_mul_lo_u32 v10, s10, v7
	v_add_u32_e32 v4, v6, v13
	s_waitcnt lgkmcnt(0)
	v_mad_i64_i32 v[4:5], s[12:13], v4, 3, s[4:5]
	v_add_u32_e32 v6, v6, v8
	v_mad_i64_i32 v[6:7], s[12:13], v6, 3, s[4:5]
	v_add_u32_e32 v8, v10, v8
	;; [unrolled: 2-line block ×3, first 2 shown]
	v_mad_i64_i32 v[10:11], s[4:5], v10, 3, s[4:5]
	global_load_ushort v14, v[4:5], off
	global_load_ushort v15, v[6:7], off
	;; [unrolled: 1-line block ×4, first 2 shown]
	global_load_ubyte v18, v[10:11], off offset:2
	global_load_ubyte v19, v[8:9], off offset:2
	;; [unrolled: 1-line block ×4, first 2 shown]
	v_cvt_f32_i32_e32 v4, v12
	v_cvt_f32_i32_e32 v5, v13
	v_sub_f32_e32 v3, v3, v4
	v_sub_f32_e32 v4, 1.0, v3
	v_sub_f32_e32 v2, v2, v5
	v_sub_f32_e32 v5, 1.0, v2
	s_waitcnt vmcnt(7)
	v_cvt_f32_ubyte0_e32 v6, v14
	s_waitcnt vmcnt(6)
	v_cvt_f32_ubyte0_e32 v7, v15
	v_cvt_f32_ubyte1_e32 v10, v14
	v_cvt_f32_ubyte1_e32 v11, v15
	v_mul_f32_e32 v6, v4, v6
	v_mul_f32_e32 v7, v4, v7
	s_waitcnt vmcnt(1)
	v_cvt_f32_ubyte0_e32 v15, v20
	s_waitcnt vmcnt(0)
	v_cvt_f32_ubyte0_e32 v14, v21
	v_mul_f32_e32 v10, v4, v10
	v_mul_f32_e32 v11, v4, v11
	;; [unrolled: 1-line block ×4, first 2 shown]
	v_cvt_f32_ubyte0_e32 v8, v16
	v_cvt_f32_ubyte1_e32 v12, v16
	v_cvt_f32_ubyte0_e32 v16, v19
	v_mul_f32_e32 v7, v2, v7
	v_mul_f32_e32 v11, v2, v11
	;; [unrolled: 1-line block ×3, first 2 shown]
	v_cvt_f32_ubyte0_e32 v9, v17
	v_cvt_f32_ubyte1_e32 v13, v17
	v_cvt_f32_ubyte0_e32 v17, v18
	v_mul_f32_e32 v8, v3, v8
	v_mul_f32_e32 v12, v3, v12
	;; [unrolled: 1-line block ×3, first 2 shown]
	v_fmac_f32_e32 v7, v5, v6
	v_fmac_f32_e32 v11, v5, v10
	;; [unrolled: 1-line block ×3, first 2 shown]
	v_mul_f32_e32 v9, v3, v9
	v_mul_f32_e32 v13, v3, v13
	;; [unrolled: 1-line block ×3, first 2 shown]
	v_fmac_f32_e32 v7, v2, v8
	v_fmac_f32_e32 v11, v2, v12
	;; [unrolled: 1-line block ×6, first 2 shown]
	v_cvt_i32_f32_e32 v5, v7
	v_cvt_i32_f32_e32 v6, v11
	;; [unrolled: 1-line block ×3, first 2 shown]
.LBB0_6:
	s_or_b64 exec, exec, s[8:9]
.LBB0_7:
	s_or_b64 exec, exec, s[6:7]
.LBB0_8:
	s_or_b64 exec, exec, s[2:3]
	v_mad_u64_u32 v[0:1], s[2:3], v1, s10, v[0:1]
	v_lshlrev_b16_e32 v2, 8, v6
	v_or_b32_e32 v2, v5, v2
	v_mad_i64_i32 v[0:1], s[0:1], v0, 3, s[0:1]
	global_store_byte v[0:1], v4, off offset:2
	global_store_short v[0:1], v2, off
.LBB0_9:
	s_endpgm
	.section	.rodata,"a",@progbits
	.p2align	6, 0x0
	.amdhsa_kernel _Z14barrel_distortPK15HIP_vector_typeIhLj3EEPS0_PK10Properties
		.amdhsa_group_segment_fixed_size 0
		.amdhsa_private_segment_fixed_size 0
		.amdhsa_kernarg_size 280
		.amdhsa_user_sgpr_count 6
		.amdhsa_user_sgpr_private_segment_buffer 1
		.amdhsa_user_sgpr_dispatch_ptr 0
		.amdhsa_user_sgpr_queue_ptr 0
		.amdhsa_user_sgpr_kernarg_segment_ptr 1
		.amdhsa_user_sgpr_dispatch_id 0
		.amdhsa_user_sgpr_flat_scratch_init 0
		.amdhsa_user_sgpr_private_segment_size 0
		.amdhsa_uses_dynamic_stack 0
		.amdhsa_system_sgpr_private_segment_wavefront_offset 0
		.amdhsa_system_sgpr_workgroup_id_x 1
		.amdhsa_system_sgpr_workgroup_id_y 1
		.amdhsa_system_sgpr_workgroup_id_z 0
		.amdhsa_system_sgpr_workgroup_info 0
		.amdhsa_system_vgpr_workitem_id 1
		.amdhsa_next_free_vgpr 22
		.amdhsa_next_free_sgpr 16
		.amdhsa_reserve_vcc 1
		.amdhsa_reserve_flat_scratch 0
		.amdhsa_float_round_mode_32 0
		.amdhsa_float_round_mode_16_64 0
		.amdhsa_float_denorm_mode_32 3
		.amdhsa_float_denorm_mode_16_64 3
		.amdhsa_dx10_clamp 1
		.amdhsa_ieee_mode 1
		.amdhsa_fp16_overflow 0
		.amdhsa_exception_fp_ieee_invalid_op 0
		.amdhsa_exception_fp_denorm_src 0
		.amdhsa_exception_fp_ieee_div_zero 0
		.amdhsa_exception_fp_ieee_overflow 0
		.amdhsa_exception_fp_ieee_underflow 0
		.amdhsa_exception_fp_ieee_inexact 0
		.amdhsa_exception_int_div_zero 0
	.end_amdhsa_kernel
	.text
.Lfunc_end0:
	.size	_Z14barrel_distortPK15HIP_vector_typeIhLj3EEPS0_PK10Properties, .Lfunc_end0-_Z14barrel_distortPK15HIP_vector_typeIhLj3EEPS0_PK10Properties
                                        ; -- End function
	.set _Z14barrel_distortPK15HIP_vector_typeIhLj3EEPS0_PK10Properties.num_vgpr, 22
	.set _Z14barrel_distortPK15HIP_vector_typeIhLj3EEPS0_PK10Properties.num_agpr, 0
	.set _Z14barrel_distortPK15HIP_vector_typeIhLj3EEPS0_PK10Properties.numbered_sgpr, 16
	.set _Z14barrel_distortPK15HIP_vector_typeIhLj3EEPS0_PK10Properties.num_named_barrier, 0
	.set _Z14barrel_distortPK15HIP_vector_typeIhLj3EEPS0_PK10Properties.private_seg_size, 0
	.set _Z14barrel_distortPK15HIP_vector_typeIhLj3EEPS0_PK10Properties.uses_vcc, 1
	.set _Z14barrel_distortPK15HIP_vector_typeIhLj3EEPS0_PK10Properties.uses_flat_scratch, 0
	.set _Z14barrel_distortPK15HIP_vector_typeIhLj3EEPS0_PK10Properties.has_dyn_sized_stack, 0
	.set _Z14barrel_distortPK15HIP_vector_typeIhLj3EEPS0_PK10Properties.has_recursion, 0
	.set _Z14barrel_distortPK15HIP_vector_typeIhLj3EEPS0_PK10Properties.has_indirect_call, 0
	.section	.AMDGPU.csdata,"",@progbits
; Kernel info:
; codeLenInByte = 712
; TotalNumSgprs: 20
; NumVgprs: 22
; ScratchSize: 0
; MemoryBound: 0
; FloatMode: 240
; IeeeMode: 1
; LDSByteSize: 0 bytes/workgroup (compile time only)
; SGPRBlocks: 2
; VGPRBlocks: 5
; NumSGPRsForWavesPerEU: 20
; NumVGPRsForWavesPerEU: 22
; Occupancy: 10
; WaveLimiterHint : 1
; COMPUTE_PGM_RSRC2:SCRATCH_EN: 0
; COMPUTE_PGM_RSRC2:USER_SGPR: 6
; COMPUTE_PGM_RSRC2:TRAP_HANDLER: 0
; COMPUTE_PGM_RSRC2:TGID_X_EN: 1
; COMPUTE_PGM_RSRC2:TGID_Y_EN: 1
; COMPUTE_PGM_RSRC2:TGID_Z_EN: 0
; COMPUTE_PGM_RSRC2:TIDIG_COMP_CNT: 1
	.section	.AMDGPU.gpr_maximums,"",@progbits
	.set amdgpu.max_num_vgpr, 0
	.set amdgpu.max_num_agpr, 0
	.set amdgpu.max_num_sgpr, 0
	.section	.AMDGPU.csdata,"",@progbits
	.type	__hip_cuid_9d65adc634af85a,@object ; @__hip_cuid_9d65adc634af85a
	.section	.bss,"aw",@nobits
	.globl	__hip_cuid_9d65adc634af85a
__hip_cuid_9d65adc634af85a:
	.byte	0                               ; 0x0
	.size	__hip_cuid_9d65adc634af85a, 1

	.ident	"AMD clang version 22.0.0git (https://github.com/RadeonOpenCompute/llvm-project roc-7.2.4 26084 f58b06dce1f9c15707c5f808fd002e18c2accf7e)"
	.section	".note.GNU-stack","",@progbits
	.addrsig
	.addrsig_sym __hip_cuid_9d65adc634af85a
	.amdgpu_metadata
---
amdhsa.kernels:
  - .args:
      - .actual_access:  read_only
        .address_space:  global
        .offset:         0
        .size:           8
        .value_kind:     global_buffer
      - .actual_access:  write_only
        .address_space:  global
        .offset:         8
        .size:           8
        .value_kind:     global_buffer
      - .actual_access:  read_only
        .address_space:  global
        .offset:         16
        .size:           8
        .value_kind:     global_buffer
      - .offset:         24
        .size:           4
        .value_kind:     hidden_block_count_x
      - .offset:         28
        .size:           4
        .value_kind:     hidden_block_count_y
      - .offset:         32
        .size:           4
        .value_kind:     hidden_block_count_z
      - .offset:         36
        .size:           2
        .value_kind:     hidden_group_size_x
      - .offset:         38
        .size:           2
        .value_kind:     hidden_group_size_y
      - .offset:         40
        .size:           2
        .value_kind:     hidden_group_size_z
      - .offset:         42
        .size:           2
        .value_kind:     hidden_remainder_x
      - .offset:         44
        .size:           2
        .value_kind:     hidden_remainder_y
      - .offset:         46
        .size:           2
        .value_kind:     hidden_remainder_z
      - .offset:         64
        .size:           8
        .value_kind:     hidden_global_offset_x
      - .offset:         72
        .size:           8
        .value_kind:     hidden_global_offset_y
      - .offset:         80
        .size:           8
        .value_kind:     hidden_global_offset_z
      - .offset:         88
        .size:           2
        .value_kind:     hidden_grid_dims
    .group_segment_fixed_size: 0
    .kernarg_segment_align: 8
    .kernarg_segment_size: 280
    .language:       OpenCL C
    .language_version:
      - 2
      - 0
    .max_flat_workgroup_size: 1024
    .name:           _Z14barrel_distortPK15HIP_vector_typeIhLj3EEPS0_PK10Properties
    .private_segment_fixed_size: 0
    .sgpr_count:     20
    .sgpr_spill_count: 0
    .symbol:         _Z14barrel_distortPK15HIP_vector_typeIhLj3EEPS0_PK10Properties.kd
    .uniform_work_group_size: 1
    .uses_dynamic_stack: false
    .vgpr_count:     22
    .vgpr_spill_count: 0
    .wavefront_size: 64
amdhsa.target:   amdgcn-amd-amdhsa--gfx906
amdhsa.version:
  - 1
  - 2
...

	.end_amdgpu_metadata
